;; amdgpu-corpus repo=ROCm/rocFFT kind=compiled arch=gfx950 opt=O3
	.text
	.amdgcn_target "amdgcn-amd-amdhsa--gfx950"
	.amdhsa_code_object_version 6
	.protected	fft_rtc_fwd_len1540_factors_11_2_7_5_2_wgs_154_tpt_154_halfLds_sp_ip_CI_sbrr_dirReg ; -- Begin function fft_rtc_fwd_len1540_factors_11_2_7_5_2_wgs_154_tpt_154_halfLds_sp_ip_CI_sbrr_dirReg
	.globl	fft_rtc_fwd_len1540_factors_11_2_7_5_2_wgs_154_tpt_154_halfLds_sp_ip_CI_sbrr_dirReg
	.p2align	8
	.type	fft_rtc_fwd_len1540_factors_11_2_7_5_2_wgs_154_tpt_154_halfLds_sp_ip_CI_sbrr_dirReg,@function
fft_rtc_fwd_len1540_factors_11_2_7_5_2_wgs_154_tpt_154_halfLds_sp_ip_CI_sbrr_dirReg: ; @fft_rtc_fwd_len1540_factors_11_2_7_5_2_wgs_154_tpt_154_halfLds_sp_ip_CI_sbrr_dirReg
; %bb.0:
	s_load_dwordx2 s[12:13], s[0:1], 0x18
	s_load_dwordx4 s[4:7], s[0:1], 0x0
	s_load_dwordx2 s[10:11], s[0:1], 0x50
	v_mul_u32_u24_e32 v1, 0x1aa, v0
	v_add_u32_sdwa v6, s2, v1 dst_sel:DWORD dst_unused:UNUSED_PAD src0_sel:DWORD src1_sel:WORD_1
	s_waitcnt lgkmcnt(0)
	s_load_dwordx2 s[8:9], s[12:13], 0x0
	v_mov_b32_e32 v4, 0
	v_cmp_lt_u64_e64 s[2:3], s[6:7], 2
	v_mov_b32_e32 v7, v4
	s_and_b64 vcc, exec, s[2:3]
	v_mov_b64_e32 v[2:3], 0
	s_cbranch_vccnz .LBB0_8
; %bb.1:
	s_load_dwordx2 s[2:3], s[0:1], 0x10
	s_add_u32 s14, s12, 8
	s_addc_u32 s15, s13, 0
	s_mov_b64 s[16:17], 1
	v_mov_b64_e32 v[2:3], 0
	s_waitcnt lgkmcnt(0)
	s_add_u32 s18, s2, 8
	s_addc_u32 s19, s3, 0
.LBB0_2:                                ; =>This Inner Loop Header: Depth=1
	s_load_dwordx2 s[20:21], s[18:19], 0x0
                                        ; implicit-def: $vgpr8_vgpr9
	s_waitcnt lgkmcnt(0)
	v_or_b32_e32 v5, s21, v7
	v_cmp_ne_u64_e32 vcc, 0, v[4:5]
	s_and_saveexec_b64 s[2:3], vcc
	s_xor_b64 s[22:23], exec, s[2:3]
	s_cbranch_execz .LBB0_4
; %bb.3:                                ;   in Loop: Header=BB0_2 Depth=1
	v_cvt_f32_u32_e32 v1, s20
	v_cvt_f32_u32_e32 v5, s21
	s_sub_u32 s2, 0, s20
	s_subb_u32 s3, 0, s21
	v_fmac_f32_e32 v1, 0x4f800000, v5
	v_rcp_f32_e32 v1, v1
	s_nop 0
	v_mul_f32_e32 v1, 0x5f7ffffc, v1
	v_mul_f32_e32 v5, 0x2f800000, v1
	v_trunc_f32_e32 v5, v5
	v_fmac_f32_e32 v1, 0xcf800000, v5
	v_cvt_u32_f32_e32 v5, v5
	v_cvt_u32_f32_e32 v1, v1
	v_mul_lo_u32 v8, s2, v5
	v_mul_hi_u32 v10, s2, v1
	v_mul_lo_u32 v9, s3, v1
	v_add_u32_e32 v10, v10, v8
	v_mul_lo_u32 v12, s2, v1
	v_add_u32_e32 v13, v10, v9
	v_mul_hi_u32 v8, v1, v12
	v_mul_hi_u32 v11, v1, v13
	v_mul_lo_u32 v10, v1, v13
	v_mov_b32_e32 v9, v4
	v_lshl_add_u64 v[8:9], v[8:9], 0, v[10:11]
	v_mul_hi_u32 v11, v5, v12
	v_mul_lo_u32 v12, v5, v12
	v_add_co_u32_e32 v8, vcc, v8, v12
	v_mul_hi_u32 v10, v5, v13
	s_nop 0
	v_addc_co_u32_e32 v8, vcc, v9, v11, vcc
	v_mov_b32_e32 v9, v4
	s_nop 0
	v_addc_co_u32_e32 v11, vcc, 0, v10, vcc
	v_mul_lo_u32 v10, v5, v13
	v_lshl_add_u64 v[8:9], v[8:9], 0, v[10:11]
	v_add_co_u32_e32 v1, vcc, v1, v8
	v_mul_lo_u32 v10, s2, v1
	s_nop 0
	v_addc_co_u32_e32 v5, vcc, v5, v9, vcc
	v_mul_lo_u32 v8, s2, v5
	v_mul_hi_u32 v9, s2, v1
	v_add_u32_e32 v8, v9, v8
	v_mul_lo_u32 v9, s3, v1
	v_add_u32_e32 v12, v8, v9
	v_mul_hi_u32 v14, v5, v10
	v_mul_lo_u32 v15, v5, v10
	v_mul_hi_u32 v9, v1, v12
	v_mul_lo_u32 v8, v1, v12
	v_mul_hi_u32 v10, v1, v10
	v_mov_b32_e32 v11, v4
	v_lshl_add_u64 v[8:9], v[10:11], 0, v[8:9]
	v_add_co_u32_e32 v8, vcc, v8, v15
	v_mul_hi_u32 v13, v5, v12
	s_nop 0
	v_addc_co_u32_e32 v8, vcc, v9, v14, vcc
	v_mul_lo_u32 v10, v5, v12
	s_nop 0
	v_addc_co_u32_e32 v11, vcc, 0, v13, vcc
	v_mov_b32_e32 v9, v4
	v_lshl_add_u64 v[8:9], v[8:9], 0, v[10:11]
	v_add_co_u32_e32 v1, vcc, v1, v8
	v_mul_hi_u32 v10, v6, v1
	s_nop 0
	v_addc_co_u32_e32 v5, vcc, v5, v9, vcc
	v_mad_u64_u32 v[8:9], s[2:3], v6, v5, 0
	v_mov_b32_e32 v11, v4
	v_lshl_add_u64 v[8:9], v[10:11], 0, v[8:9]
	v_mad_u64_u32 v[12:13], s[2:3], v7, v1, 0
	v_add_co_u32_e32 v1, vcc, v8, v12
	v_mad_u64_u32 v[10:11], s[2:3], v7, v5, 0
	s_nop 0
	v_addc_co_u32_e32 v8, vcc, v9, v13, vcc
	v_mov_b32_e32 v9, v4
	s_nop 0
	v_addc_co_u32_e32 v11, vcc, 0, v11, vcc
	v_lshl_add_u64 v[8:9], v[8:9], 0, v[10:11]
	v_mul_lo_u32 v1, s21, v8
	v_mul_lo_u32 v5, s20, v9
	v_mad_u64_u32 v[10:11], s[2:3], s20, v8, 0
	v_add3_u32 v1, v11, v5, v1
	v_sub_u32_e32 v5, v7, v1
	v_mov_b32_e32 v11, s21
	v_sub_co_u32_e32 v14, vcc, v6, v10
	v_lshl_add_u64 v[12:13], v[8:9], 0, 1
	s_nop 0
	v_subb_co_u32_e64 v5, s[2:3], v5, v11, vcc
	v_subrev_co_u32_e64 v10, s[2:3], s20, v14
	v_subb_co_u32_e32 v1, vcc, v7, v1, vcc
	s_nop 0
	v_subbrev_co_u32_e64 v5, s[2:3], 0, v5, s[2:3]
	v_cmp_le_u32_e64 s[2:3], s21, v5
	v_cmp_le_u32_e32 vcc, s21, v1
	s_nop 0
	v_cndmask_b32_e64 v11, 0, -1, s[2:3]
	v_cmp_le_u32_e64 s[2:3], s20, v10
	s_nop 1
	v_cndmask_b32_e64 v10, 0, -1, s[2:3]
	v_cmp_eq_u32_e64 s[2:3], s21, v5
	s_nop 1
	v_cndmask_b32_e64 v5, v11, v10, s[2:3]
	v_lshl_add_u64 v[10:11], v[8:9], 0, 2
	v_cmp_ne_u32_e64 s[2:3], 0, v5
	s_nop 1
	v_cndmask_b32_e64 v5, v13, v11, s[2:3]
	v_cndmask_b32_e64 v11, 0, -1, vcc
	v_cmp_le_u32_e32 vcc, s20, v14
	s_nop 1
	v_cndmask_b32_e64 v13, 0, -1, vcc
	v_cmp_eq_u32_e32 vcc, s21, v1
	s_nop 1
	v_cndmask_b32_e32 v1, v11, v13, vcc
	v_cmp_ne_u32_e32 vcc, 0, v1
	v_cndmask_b32_e64 v1, v12, v10, s[2:3]
	s_nop 0
	v_cndmask_b32_e32 v9, v9, v5, vcc
	v_cndmask_b32_e32 v8, v8, v1, vcc
.LBB0_4:                                ;   in Loop: Header=BB0_2 Depth=1
	s_andn2_saveexec_b64 s[2:3], s[22:23]
	s_cbranch_execz .LBB0_6
; %bb.5:                                ;   in Loop: Header=BB0_2 Depth=1
	v_cvt_f32_u32_e32 v1, s20
	s_sub_i32 s22, 0, s20
	v_rcp_iflag_f32_e32 v1, v1
	s_nop 0
	v_mul_f32_e32 v1, 0x4f7ffffe, v1
	v_cvt_u32_f32_e32 v1, v1
	v_mul_lo_u32 v5, s22, v1
	v_mul_hi_u32 v5, v1, v5
	v_add_u32_e32 v1, v1, v5
	v_mul_hi_u32 v1, v6, v1
	v_mul_lo_u32 v5, v1, s20
	v_sub_u32_e32 v5, v6, v5
	v_add_u32_e32 v8, 1, v1
	v_subrev_u32_e32 v9, s20, v5
	v_cmp_le_u32_e32 vcc, s20, v5
	s_nop 1
	v_cndmask_b32_e32 v5, v5, v9, vcc
	v_cndmask_b32_e32 v1, v1, v8, vcc
	v_add_u32_e32 v8, 1, v1
	v_cmp_le_u32_e32 vcc, s20, v5
	v_mov_b32_e32 v9, v4
	s_nop 0
	v_cndmask_b32_e32 v8, v1, v8, vcc
.LBB0_6:                                ;   in Loop: Header=BB0_2 Depth=1
	s_or_b64 exec, exec, s[2:3]
	v_mad_u64_u32 v[10:11], s[2:3], v8, s20, 0
	s_load_dwordx2 s[2:3], s[14:15], 0x0
	v_mul_lo_u32 v1, v9, s20
	v_mul_lo_u32 v5, v8, s21
	v_add3_u32 v1, v11, v5, v1
	v_sub_co_u32_e32 v5, vcc, v6, v10
	s_add_u32 s16, s16, 1
	s_nop 0
	v_subb_co_u32_e32 v1, vcc, v7, v1, vcc
	s_addc_u32 s17, s17, 0
	s_waitcnt lgkmcnt(0)
	v_mul_lo_u32 v1, s2, v1
	v_mul_lo_u32 v6, s3, v5
	v_mad_u64_u32 v[2:3], s[2:3], s2, v5, v[2:3]
	s_add_u32 s14, s14, 8
	v_add3_u32 v3, v6, v3, v1
	s_addc_u32 s15, s15, 0
	v_mov_b64_e32 v[6:7], s[6:7]
	s_add_u32 s18, s18, 8
	v_cmp_ge_u64_e32 vcc, s[16:17], v[6:7]
	s_addc_u32 s19, s19, 0
	s_cbranch_vccnz .LBB0_9
; %bb.7:                                ;   in Loop: Header=BB0_2 Depth=1
	v_mov_b64_e32 v[6:7], v[8:9]
	s_branch .LBB0_2
.LBB0_8:
	v_mov_b64_e32 v[8:9], v[6:7]
.LBB0_9:
	s_lshl_b64 s[2:3], s[6:7], 3
	s_add_u32 s2, s12, s2
	s_addc_u32 s3, s13, s3
	s_load_dwordx2 s[6:7], s[2:3], 0x0
	s_load_dwordx2 s[12:13], s[0:1], 0x20
	v_mov_b32_e32 v5, 0
	v_mov_b32_e32 v25, 0
                                        ; implicit-def: $vgpr12
                                        ; implicit-def: $vgpr34
                                        ; implicit-def: $vgpr36
                                        ; implicit-def: $vgpr22
                                        ; implicit-def: $vgpr28
                                        ; implicit-def: $vgpr16
                                        ; implicit-def: $vgpr18
                                        ; implicit-def: $vgpr14
	s_waitcnt lgkmcnt(0)
	v_mad_u64_u32 v[6:7], s[0:1], s6, v8, v[2:3]
	v_mul_lo_u32 v1, s6, v9
	v_mul_lo_u32 v4, s7, v8
	s_mov_b32 s0, 0x1a98ef7
	v_add3_u32 v7, v4, v7, v1
	v_mul_hi_u32 v1, v0, s0
	v_mul_u32_u24_e32 v1, 0x9a, v1
	v_sub_u32_e32 v2, v0, v1
	s_movk_i32 s0, 0x8c
	v_cmp_gt_u64_e32 vcc, s[12:13], v[8:9]
	v_cmp_gt_u32_e64 s[0:1], s0, v2
	s_and_b64 s[6:7], vcc, s[0:1]
	v_lshl_add_u64 v[0:1], v[6:7], 3, s[10:11]
                                        ; implicit-def: $vgpr6
                                        ; implicit-def: $vgpr8
	s_and_saveexec_b64 s[2:3], s[6:7]
	s_cbranch_execz .LBB0_11
; %bb.10:
	v_mad_u64_u32 v[4:5], s[6:7], s8, v2, 0
	v_mov_b32_e32 v6, v5
	v_mad_u64_u32 v[6:7], s[6:7], s9, v2, v[6:7]
	v_add_u32_e32 v3, 0x8c, v2
	v_mov_b32_e32 v5, v6
	v_mad_u64_u32 v[6:7], s[6:7], s8, v3, 0
	v_mov_b32_e32 v8, v7
	v_mad_u64_u32 v[8:9], s[6:7], s9, v3, v[8:9]
	v_mov_b32_e32 v7, v8
	v_add_u32_e32 v3, 0x118, v2
	v_lshl_add_u64 v[8:9], v[6:7], 3, v[0:1]
	v_mad_u64_u32 v[6:7], s[6:7], s8, v3, 0
	v_mov_b32_e32 v10, v7
	v_mad_u64_u32 v[10:11], s[6:7], s9, v3, v[10:11]
	v_mov_b32_e32 v7, v10
	v_add_u32_e32 v3, 0x1a4, v2
	v_lshl_add_u64 v[10:11], v[6:7], 3, v[0:1]
	v_mad_u64_u32 v[6:7], s[6:7], s8, v3, 0
	v_mov_b32_e32 v12, v7
	v_mad_u64_u32 v[12:13], s[6:7], s9, v3, v[12:13]
	v_lshl_add_u64 v[4:5], v[4:5], 3, v[0:1]
	v_mov_b32_e32 v7, v12
	v_add_u32_e32 v3, 0x230, v2
	v_lshl_add_u64 v[14:15], v[6:7], 3, v[0:1]
	global_load_dwordx2 v[20:21], v[4:5], off
	global_load_dwordx2 v[6:7], v[8:9], off
	;; [unrolled: 1-line block ×4, first 2 shown]
	v_mad_u64_u32 v[4:5], s[6:7], s8, v3, 0
	v_mov_b32_e32 v8, v5
	v_mad_u64_u32 v[8:9], s[6:7], s9, v3, v[8:9]
	v_add_u32_e32 v3, 0x2bc, v2
	v_mov_b32_e32 v5, v8
	v_mad_u64_u32 v[8:9], s[6:7], s8, v3, 0
	v_mov_b32_e32 v10, v9
	v_mad_u64_u32 v[10:11], s[6:7], s9, v3, v[10:11]
	v_mov_b32_e32 v9, v10
	v_add_u32_e32 v3, 0x348, v2
	v_lshl_add_u64 v[10:11], v[8:9], 3, v[0:1]
	v_mad_u64_u32 v[8:9], s[6:7], s8, v3, 0
	v_mov_b32_e32 v14, v9
	v_mad_u64_u32 v[14:15], s[6:7], s9, v3, v[14:15]
	v_add_u32_e32 v3, 0x3d4, v2
	v_mov_b32_e32 v9, v14
	v_mad_u64_u32 v[26:27], s[6:7], s8, v3, 0
	v_lshl_add_u64 v[18:19], v[8:9], 3, v[0:1]
	v_mov_b32_e32 v8, v27
	v_mad_u64_u32 v[30:31], s[6:7], s9, v3, v[8:9]
	v_add_u32_e32 v3, 0x460, v2
	v_mad_u64_u32 v[8:9], s[6:7], s8, v3, 0
	v_mov_b32_e32 v14, v9
	v_mad_u64_u32 v[14:15], s[6:7], s9, v3, v[14:15]
	v_mov_b32_e32 v9, v14
	v_add_u32_e32 v3, 0x4ec, v2
	v_lshl_add_u64 v[32:33], v[8:9], 3, v[0:1]
	v_mad_u64_u32 v[8:9], s[6:7], s8, v3, 0
	v_mov_b32_e32 v14, v9
	v_mad_u64_u32 v[14:15], s[6:7], s9, v3, v[14:15]
	v_mov_b32_e32 v9, v14
	v_add_u32_e32 v3, 0x578, v2
	v_lshl_add_u64 v[36:37], v[8:9], 3, v[0:1]
	v_mad_u64_u32 v[8:9], s[6:7], s8, v3, 0
	v_mov_b32_e32 v14, v9
	v_mad_u64_u32 v[14:15], s[6:7], s9, v3, v[14:15]
	v_lshl_add_u64 v[4:5], v[4:5], 3, v[0:1]
	v_mov_b32_e32 v9, v14
	v_mov_b32_e32 v27, v30
	v_lshl_add_u64 v[38:39], v[8:9], 3, v[0:1]
	global_load_dwordx2 v[8:9], v[32:33], off
	global_load_dwordx2 v[14:15], v[36:37], off
	;; [unrolled: 1-line block ×6, first 2 shown]
	v_lshl_add_u64 v[4:5], v[26:27], 3, v[0:1]
	global_load_dwordx2 v[18:19], v[4:5], off
	s_waitcnt vmcnt(10)
	v_mov_b32_e32 v5, v21
	s_waitcnt vmcnt(7)
	v_mov_b32_e32 v36, v13
	;; [unrolled: 2-line block ×4, first 2 shown]
	v_mov_b32_e32 v25, v20
.LBB0_11:
	s_or_b64 exec, exec, s[2:3]
	v_add_f32_e32 v46, v6, v34
	v_pk_add_f32 v[38:39], v[6:7], v[36:37] neg_lo:[0,1] neg_hi:[0,1]
	v_mul_f32_e32 v35, 0x3f575c64, v46
	v_pk_add_f32 v[20:21], v[22:23], v[14:15]
	v_fmamk_f32 v3, v39, 0xbf0a6770, v35
	v_pk_add_f32 v[30:31], v[22:23], v[14:15] neg_lo:[0,1] neg_hi:[0,1]
	v_mul_f32_e32 v13, 0x3ed4b147, v20
	v_add_f32_e32 v3, v25, v3
	v_fmamk_f32 v10, v31, 0xbf68dda4, v13
	v_add_f32_e32 v11, v10, v3
	v_add_f32_e32 v10, v12, v8
	v_mov_b32_e32 v26, v9
	v_pk_add_f32 v[40:41], v[36:37], v[26:27] op_sel_hi:[1,0] neg_lo:[0,1] neg_hi:[0,1]
	v_mul_f32_e32 v3, 0xbe11bafb, v10
	v_fmamk_f32 v26, v40, 0xbf7d64f0, v3
	v_add_f32_e32 v11, v26, v11
	s_waitcnt vmcnt(0)
	v_pk_add_f32 v[26:27], v[28:29], v[18:19]
	v_pk_add_f32 v[32:33], v[28:29], v[18:19] neg_lo:[0,1] neg_hi:[0,1]
	v_mul_f32_e32 v47, 0xbf27a4f4, v26
	v_mov_b32_e32 v42, v17
	v_fmamk_f32 v43, v33, 0xbf4178ce, v47
	v_pk_add_f32 v[44:45], v[16:17], v[24:25]
	v_add_f32_e32 v11, v43, v11
	v_pk_add_f32 v[42:43], v[42:43], v[4:5] op_sel_hi:[0,1] neg_lo:[0,1] neg_hi:[0,1]
	v_mul_f32_e32 v48, 0xbf75a155, v44
	s_mov_b32 s12, 0x3ed4b147
	s_mov_b32 s6, 0xbe11bafb
	;; [unrolled: 1-line block ×4, first 2 shown]
	v_fmamk_f32 v49, v42, 0xbe903f40, v48
	s_mov_b32 s19, 0x3f575c64
	s_mov_b32 s14, 0xbf0a6770
	;; [unrolled: 1-line block ×6, first 2 shown]
	v_add_f32_e32 v11, v49, v11
	s_and_saveexec_b64 s[16:17], s[0:1]
	s_cbranch_execz .LBB0_13
; %bb.12:
	s_mov_b32 s24, s10
	s_mov_b32 s25, s2
	;; [unrolled: 1-line block ×4, first 2 shown]
	v_pk_mul_f32 v[50:51], v[46:47], s[24:25] op_sel_hi:[0,1]
	v_pk_mul_f32 v[52:53], v[46:47], s[34:35] op_sel_hi:[0,1]
	v_add_f32_e32 v46, v25, v6
	v_add_f32_e32 v46, v46, v22
	;; [unrolled: 1-line block ×3, first 2 shown]
	v_mul_f32_e32 v49, 0xbf0a6770, v39
	v_mul_f32_e32 v58, 0xbe903f40, v42
	v_add_f32_e32 v28, v46, v28
	v_mul_f32_e32 v60, 0xbf68dda4, v31
	v_sub_f32_e32 v49, v35, v49
	v_sub_f32_e32 v35, v48, v58
	v_add_f32_e32 v48, v28, v16
	v_mul_f32_e32 v62, 0xbf7d64f0, v40
	v_sub_f32_e32 v61, v13, v60
	v_pk_add_f32 v[48:49], v[48:49], v[24:25]
	v_mov_b32_e32 v60, v18
	v_mul_f32_e32 v64, 0xbf4178ce, v33
	v_pk_add_f32 v[48:49], v[48:49], v[60:61]
	v_sub_f32_e32 v63, v3, v62
	v_mov_b32_e32 v62, v8
	v_sub_f32_e32 v47, v47, v64
	v_pk_add_f32 v[48:49], v[48:49], v[62:63]
	v_mov_b32_e32 v46, v14
	v_pk_add_f32 v[46:47], v[48:49], v[46:47]
	s_mov_b32 s36, s13
	s_mov_b32 s37, s7
	v_mad_u32_u24 v13, v2, 44, 0
	v_pk_add_f32 v[46:47], v[46:47], v[34:35]
	s_mov_b32 s28, s2
	s_mov_b32 s29, s12
	;; [unrolled: 1-line block ×3, first 2 shown]
	v_pk_mul_f32 v[54:55], v[20:21], s[24:25] op_sel_hi:[0,1]
	s_mov_b32 s25, 0x3e903f40
	s_mov_b32 s24, s11
	ds_write2_b32 v13, v46, v47 offset1:1
	v_pk_fma_f32 v[46:47], v[38:39], s[36:37], v[52:53] op_sel:[1,0,0] neg_lo:[1,0,0] neg_hi:[1,0,0]
	s_mov_b32 s18, s6
	s_mov_b32 s22, 0x3f7d64f0
	v_pk_mul_f32 v[56:57], v[10:11], s[28:29] op_sel_hi:[0,1]
	s_mov_b32 s38, s25
	s_mov_b32 s39, s31
	v_pk_add_f32 v[46:47], v[24:25], v[46:47] op_sel:[1,0]
	v_pk_fma_f32 v[48:49], v[30:31], s[24:25], v[54:55] op_sel:[1,0,0] neg_lo:[1,0,0] neg_hi:[1,0,0]
	s_mov_b32 s23, 0x3f0a6770
	s_mov_b32 s26, s19
	;; [unrolled: 1-line block ×3, first 2 shown]
	v_pk_mul_f32 v[58:59], v[26:27], s[18:19] op_sel_hi:[0,1]
	s_mov_b32 s40, s22
	s_mov_b32 s41, s14
	v_pk_add_f32 v[46:47], v[48:49], v[46:47]
	v_pk_fma_f32 v[48:49], v[40:41], s[38:39], v[56:57] op_sel_hi:[0,1,1] neg_lo:[1,0,0] neg_hi:[1,0,0]
	v_pk_mul_f32 v[60:61], v[44:45], s[26:27] op_sel_hi:[0,1]
	s_mov_b32 s42, s23
	s_mov_b32 s43, s11
	v_pk_add_f32 v[46:47], v[48:49], v[46:47]
	v_pk_fma_f32 v[48:49], v[32:33], s[40:41], v[58:59] op_sel:[1,0,0] neg_lo:[1,0,0] neg_hi:[1,0,0]
	s_mov_b32 s20, s11
	v_pk_add_f32 v[46:47], v[48:49], v[46:47]
	v_pk_fma_f32 v[48:49], v[42:43], s[42:43], v[60:61] op_sel_hi:[0,1,1] neg_lo:[1,0,0] neg_hi:[1,0,0]
	s_mov_b32 s21, s3
	v_pk_add_f32 v[46:47], v[48:49], v[46:47]
	v_pk_mul_f32 v[48:49], v[20:21], s[18:19] op_sel_hi:[0,1]
	ds_write2_b32 v13, v46, v47 offset0:2 offset1:3
	v_pk_fma_f32 v[46:47], v[38:39], s[20:21], v[50:51] op_sel:[1,0,0] neg_lo:[1,0,0] neg_hi:[1,0,0]
	v_pk_fma_f32 v[62:63], v[30:31], s[22:23], v[48:49] op_sel:[1,0,0] neg_lo:[1,0,0] neg_hi:[1,0,0]
	v_pk_add_f32 v[46:47], v[24:25], v[46:47] op_sel:[1,0]
	s_mov_b32 s15, s11
	v_pk_add_f32 v[46:47], v[62:63], v[46:47]
	v_pk_mul_f32 v[62:63], v[10:11], s[26:27] op_sel_hi:[0,1]
	v_pk_fma_f32 v[64:65], v[40:41], s[14:15], v[62:63] op_sel_hi:[0,1,1] neg_lo:[1,0,0] neg_hi:[1,0,0]
	v_pk_add_f32 v[46:47], v[64:65], v[46:47]
	s_mov_b32 s30, s3
	v_pk_mul_f32 v[64:65], v[26:27], s[28:29] op_sel_hi:[0,1]
	v_pk_fma_f32 v[66:67], v[32:33], s[30:31], v[64:65] op_sel:[1,0,0] neg_lo:[1,0,0] neg_hi:[1,0,0]
	v_pk_mul_f32 v[44:45], v[44:45], s[34:35] op_sel_hi:[0,1]
	s_mov_b32 s18, s31
	s_mov_b32 s19, s7
	v_pk_add_f32 v[46:47], v[66:67], v[46:47]
	v_pk_fma_f32 v[66:67], v[42:43], s[18:19], v[44:45] op_sel_hi:[0,1,1] neg_lo:[1,0,0] neg_hi:[1,0,0]
	v_pk_add_f32 v[46:47], v[66:67], v[46:47]
	ds_write2_b32 v13, v46, v47 offset0:4 offset1:5
	v_pk_fma_f32 v[46:47], v[38:39], s[20:21], v[50:51] op_sel:[1,0,0]
	v_pk_fma_f32 v[48:49], v[30:31], s[22:23], v[48:49] op_sel:[1,0,0]
	v_pk_add_f32 v[46:47], v[24:25], v[46:47] op_sel:[1,0]
	v_pk_fma_f32 v[44:45], v[42:43], s[18:19], v[44:45] op_sel_hi:[0,1,1]
	v_pk_add_f32 v[46:47], v[48:49], v[46:47]
	v_pk_fma_f32 v[48:49], v[40:41], s[14:15], v[62:63] op_sel_hi:[0,1,1]
	v_pk_add_f32 v[46:47], v[48:49], v[46:47]
	v_pk_fma_f32 v[48:49], v[32:33], s[30:31], v[64:65] op_sel:[1,0,0]
	v_pk_fma_f32 v[38:39], v[38:39], s[36:37], v[52:53] op_sel:[1,0,0]
	v_pk_add_f32 v[46:47], v[48:49], v[46:47]
	v_pk_add_f32 v[38:39], v[24:25], v[38:39] op_sel:[1,0]
	v_pk_add_f32 v[44:45], v[44:45], v[46:47]
	ds_write2_b32 v13, v45, v44 offset0:6 offset1:7
	v_pk_fma_f32 v[44:45], v[30:31], s[24:25], v[54:55] op_sel:[1,0,0]
	v_pk_fma_f32 v[40:41], v[40:41], s[38:39], v[56:57] op_sel_hi:[0,1,1]
	v_pk_add_f32 v[38:39], v[44:45], v[38:39]
	s_nop 0
	v_pk_add_f32 v[38:39], v[40:41], v[38:39]
	v_pk_fma_f32 v[40:41], v[32:33], s[40:41], v[58:59] op_sel:[1,0,0]
	s_nop 0
	v_pk_add_f32 v[38:39], v[40:41], v[38:39]
	v_pk_fma_f32 v[40:41], v[42:43], s[42:43], v[60:61] op_sel_hi:[0,1,1]
	v_pk_add_f32 v[38:39], v[40:41], v[38:39]
	ds_write2_b32 v13, v39, v38 offset0:8 offset1:9
	ds_write_b32 v13, v11 offset:40
	v_mov_b32_e32 v10, v39
	v_mov_b32_e32 v3, v38
.LBB0_13:
	s_or_b64 exec, exec, s[16:17]
	v_pk_add_f32 v[38:39], v[4:5], v[6:7]
	v_sub_f32_e32 v10, v6, v34
	v_pk_add_f32 v[22:23], v[38:39], v[22:23]
	v_mov_b32_e32 v18, v37
	v_mov_b32_e32 v6, v23
	;; [unrolled: 1-line block ×3, first 2 shown]
	v_pk_add_f32 v[36:37], v[6:7], v[36:37]
	v_mov_b32_e32 v53, 0x3f575c64
	v_mov_b32_e32 v52, v29
	;; [unrolled: 1-line block ×4, first 2 shown]
	v_pk_add_f32 v[38:39], v[12:13], v[8:9]
	v_pk_add_f32 v[40:41], v[12:13], v[8:9] neg_lo:[0,1] neg_hi:[0,1]
	v_pk_mul_f32 v[6:7], v[36:37], v[52:53]
	v_pk_mul_f32 v[46:47], v[34:35], s[12:13]
	v_mov_b32_e32 v12, v39
	v_mov_b32_e32 v13, v40
	v_fmamk_f32 v6, v10, 0x3f0a6770, v7
	v_mov_b32_e32 v25, v4
	v_sub_f32_e32 v3, v46, v47
	v_pk_mul_f32 v[48:49], v[12:13], s[6:7]
	v_mov_b32_e32 v12, v27
	v_mov_b32_e32 v13, v32
	v_add_f32_e32 v6, v5, v6
	v_pk_add_f32 v[42:43], v[16:17], v[24:25]
	v_pk_add_f32 v[44:45], v[16:17], v[24:25] neg_lo:[0,1] neg_hi:[0,1]
	v_sub_f32_e32 v8, v48, v49
	v_pk_mul_f32 v[50:51], v[12:13], s[10:11]
	v_add_f32_e32 v3, v3, v6
	v_mov_b32_e32 v12, v43
	v_mov_b32_e32 v13, v44
	v_add_f32_e32 v3, v8, v3
	v_sub_f32_e32 v6, v50, v51
	v_pk_mul_f32 v[54:55], v[12:13], s[2:3]
	v_add_f32_e32 v3, v6, v3
	v_sub_f32_e32 v6, v54, v55
	v_lshl_add_u32 v56, v2, 2, 0
	v_add_u32_e32 v8, 0x134, v2
	v_add_f32_e32 v13, v6, v3
	v_add_u32_e32 v12, 0x900, v56
	v_add_u32_e32 v16, 0xe00, v56
	;; [unrolled: 1-line block ×3, first 2 shown]
	v_lshl_add_u32 v57, v8, 2, 0
	s_waitcnt lgkmcnt(0)
	s_barrier
	ds_read2_b32 v[34:35], v56 offset1:154
	ds_read2_b32 v[24:25], v12 offset0:40 offset1:194
	ds_read2_b32 v[22:23], v16 offset0:28 offset1:182
	v_lshl_add_u32 v58, v6, 2, 0
	v_add_u32_e32 v59, 0x1200, v56
	ds_read_b32 v3, v57
	ds_read_b32 v14, v58
	ds_read2_b32 v[28:29], v59 offset0:80 offset1:234
	s_mov_b32 s6, 0x3f0a6770
	s_waitcnt lgkmcnt(0)
	s_barrier
	s_and_saveexec_b64 s[2:3], s[0:1]
	s_cbranch_execz .LBB0_15
; %bb.14:
	v_pk_add_f32 v[52:53], v[36:37], v[52:53]
	v_mul_f32_e32 v61, 0xbf0a6770, v10
	v_mov_b32_e32 v63, v46
	v_mov_b32_e32 v53, v7
	;; [unrolled: 1-line block ×3, first 2 shown]
	v_pk_add_f32 v[46:47], v[62:63], v[46:47]
	v_mov_b32_e32 v63, v48
	v_pk_add_f32 v[52:53], v[52:53], v[60:61]
	v_pk_add_f32 v[48:49], v[62:63], v[48:49]
	v_mov_b32_e32 v63, v50
	v_pk_add_f32 v[52:53], v[52:53], v[4:5]
	v_mov_b32_e32 v46, v19
	v_pk_add_f32 v[50:51], v[62:63], v[50:51]
	v_pk_add_f32 v[46:47], v[52:53], v[46:47]
	v_mov_b32_e32 v48, v9
	v_mov_b32_e32 v7, v54
	v_pk_add_f32 v[46:47], v[46:47], v[48:49]
	v_mov_b32_e32 v50, v15
	v_pk_add_f32 v[48:49], v[6:7], v[54:55]
	v_pk_add_f32 v[46:47], v[46:47], v[50:51]
	v_mov_b32_e32 v19, v49
	s_mov_b32 s1, 0xbf7d64f0
	s_mov_b32 s0, 0xbf68dda4
	;; [unrolled: 1-line block ×3, first 2 shown]
	v_pk_add_f32 v[18:19], v[46:47], v[18:19]
	v_pk_mul_f32 v[46:47], v[10:11], s[0:1] op_sel_hi:[0,1]
	s_mov_b32 s10, 0xbf27a4f4
	s_mov_b32 s13, 0x3e903f40
	;; [unrolled: 1-line block ×6, first 2 shown]
	v_pk_mul_f32 v[48:49], v[30:31], s[12:13] op_sel_hi:[0,1]
	s_mov_b32 s17, 0x3f68dda4
	s_mov_b32 s16, s13
	v_pk_fma_f32 v[60:61], v[36:37], s[18:19], v[46:47] op_sel:[1,0,0]
	v_pk_fma_f32 v[50:51], v[20:21], s[10:11], v[48:49] op_sel:[1,0,0]
	s_mov_b32 s14, s11
	v_pk_mul_f32 v[52:53], v[40:41], s[16:17] op_sel_hi:[0,1]
	v_pk_add_f32 v[60:61], v[4:5], v[60:61] op_sel:[1,0]
	s_mov_b32 s22, 0x3f7d64f0
	v_pk_fma_f32 v[54:55], v[38:39], s[14:15], v[52:53] op_sel:[1,0,0]
	v_pk_add_f32 v[50:51], v[50:51], v[60:61]
	s_mov_b32 s23, 0xbf0a6770
	v_pk_fma_f32 v[46:47], v[36:37], s[18:19], v[46:47] op_sel:[1,0,0] neg_lo:[0,0,1] neg_hi:[0,0,1]
	v_pk_add_f32 v[50:51], v[54:55], v[50:51]
	s_mov_b32 s21, 0x3f575c64
	s_mov_b32 s20, s19
	v_pk_mul_f32 v[54:55], v[32:33], s[22:23] op_sel_hi:[0,1]
	v_pk_fma_f32 v[48:49], v[20:21], s[10:11], v[48:49] op_sel:[1,0,0] neg_lo:[0,0,1] neg_hi:[0,0,1]
	v_pk_add_f32 v[46:47], v[4:5], v[46:47] op_sel:[1,0]
	v_pk_fma_f32 v[60:61], v[26:27], s[20:21], v[54:55] op_sel:[1,0,0]
	s_mov_b32 s7, s12
	v_pk_fma_f32 v[52:53], v[38:39], s[14:15], v[52:53] op_sel:[1,0,0] neg_lo:[0,0,1] neg_hi:[0,0,1]
	v_pk_add_f32 v[46:47], v[48:49], v[46:47]
	v_pk_add_f32 v[50:51], v[60:61], v[50:51]
	s_mov_b32 s24, s21
	s_mov_b32 s25, s10
	v_pk_mul_f32 v[60:61], v[44:45], s[6:7] op_sel_hi:[0,1]
	v_pk_add_f32 v[46:47], v[52:53], v[46:47]
	v_pk_fma_f32 v[48:49], v[26:27], s[20:21], v[54:55] op_sel:[1,0,0] neg_lo:[0,0,1] neg_hi:[0,0,1]
	s_mov_b32 s13, 0xbe903f40
	v_pk_add_f32 v[46:47], v[48:49], v[46:47]
	v_pk_fma_f32 v[48:49], v[42:43], s[24:25], v[60:61] op_sel:[1,0,0] neg_lo:[0,0,1] neg_hi:[0,0,1]
	s_mov_b32 s26, s22
	v_pk_add_f32 v[46:47], v[48:49], v[46:47]
	v_pk_mul_f32 v[48:49], v[10:11], s[12:13] op_sel_hi:[0,1]
	s_mov_b32 s27, s6
	v_pk_fma_f32 v[62:63], v[42:43], s[24:25], v[60:61] op_sel:[1,0,0]
	v_pk_mul_f32 v[30:31], v[30:31], s[26:27] op_sel_hi:[0,1]
	s_mov_b32 s6, s23
	v_pk_fma_f32 v[60:61], v[36:37], s[10:11], v[48:49] op_sel:[1,0,0]
	v_pk_fma_f32 v[36:37], v[36:37], s[10:11], v[48:49] op_sel:[1,0,0] neg_lo:[0,0,1] neg_hi:[0,0,1]
	v_pk_fma_f32 v[52:53], v[20:21], s[20:21], v[30:31] op_sel:[1,0,0]
	v_pk_mul_f32 v[40:41], v[40:41], s[6:7] op_sel_hi:[0,1]
	v_pk_add_f32 v[60:61], v[4:5], v[60:61] op_sel:[1,0]
	s_mov_b32 s16, s13
	v_pk_fma_f32 v[20:21], v[20:21], s[20:21], v[30:31] op_sel:[1,0,0] neg_lo:[0,0,1] neg_hi:[0,0,1]
	v_pk_add_f32 v[4:5], v[4:5], v[36:37] op_sel:[1,0]
	v_pk_mul_f32 v[32:33], v[32:33], s[16:17] op_sel_hi:[0,1]
	s_mov_b32 s0, s17
	v_pk_fma_f32 v[30:31], v[38:39], s[24:25], v[40:41] op_sel:[1,0,0] neg_lo:[0,0,1] neg_hi:[0,0,1]
	v_pk_add_f32 v[4:5], v[20:21], v[4:5]
	v_pk_fma_f32 v[54:55], v[38:39], s[24:25], v[40:41] op_sel:[1,0,0]
	v_pk_add_f32 v[52:53], v[52:53], v[60:61]
	v_pk_mul_f32 v[44:45], v[44:45], s[0:1] op_sel_hi:[0,1]
	v_pk_add_f32 v[4:5], v[30:31], v[4:5]
	v_pk_fma_f32 v[20:21], v[26:27], s[14:15], v[32:33] op_sel:[1,0,0] neg_lo:[0,0,1] neg_hi:[0,0,1]
	v_pk_add_f32 v[52:53], v[54:55], v[52:53]
	v_pk_fma_f32 v[54:55], v[26:27], s[14:15], v[32:33] op_sel:[1,0,0]
	v_pk_add_f32 v[4:5], v[20:21], v[4:5]
	v_pk_fma_f32 v[20:21], v[42:43], s[18:19], v[44:45] op_sel:[1,0,0] neg_lo:[0,0,1] neg_hi:[0,0,1]
	v_pk_add_f32 v[52:53], v[54:55], v[52:53]
	v_pk_fma_f32 v[54:55], v[42:43], s[18:19], v[44:45] op_sel:[1,0,0]
	v_pk_add_f32 v[4:5], v[20:21], v[4:5]
	v_mad_u32_u24 v7, v2, 40, v56
	v_pk_add_f32 v[50:51], v[62:63], v[50:51]
	v_pk_add_f32 v[52:53], v[54:55], v[52:53]
	ds_write2_b32 v7, v18, v19 offset1:1
	ds_write2_b32 v7, v50, v51 offset0:2 offset1:3
	ds_write2_b32 v7, v52, v53 offset0:4 offset1:5
	v_mov_b32_e32 v10, v5
	ds_write2_b32 v7, v5, v4 offset0:6 offset1:7
	ds_write2_b32 v7, v47, v46 offset0:8 offset1:9
	ds_write_b32 v7, v13 offset:40
.LBB0_15:
	s_or_b64 exec, exec, s[2:3]
	s_movk_i32 s0, 0x75
	v_mul_lo_u16_sdwa v5, v2, s0 dst_sel:DWORD dst_unused:UNUSED_PAD src0_sel:BYTE_0 src1_sel:DWORD
	s_mov_b32 s0, 0xba2f
	v_mul_u32_u24_sdwa v17, v6, s0 dst_sel:DWORD dst_unused:UNUSED_PAD src0_sel:WORD_0 src1_sel:DWORD
	v_lshrrev_b32_e32 v30, 19, v17
	v_add_u32_e32 v4, 0x268, v2
	v_sub_u16_sdwa v7, v2, v5 dst_sel:DWORD dst_unused:UNUSED_PAD src0_sel:DWORD src1_sel:BYTE_1
	v_mul_lo_u16_e32 v17, 11, v30
	v_lshrrev_b16_e32 v7, 1, v7
	v_sub_u16_e32 v31, v6, v17
	v_mul_u32_u24_sdwa v17, v4, s0 dst_sel:DWORD dst_unused:UNUSED_PAD src0_sel:WORD_0 src1_sel:DWORD
	v_and_b32_e32 v7, 0x7f, v7
	v_lshrrev_b32_e32 v32, 19, v17
	v_add_u32_e32 v52, 0x9a, v2
	v_add_u16_sdwa v5, v7, v5 dst_sel:DWORD dst_unused:UNUSED_PAD src0_sel:DWORD src1_sel:BYTE_1
	v_mul_lo_u16_e32 v17, 11, v32
	v_lshrrev_b16_e32 v7, 3, v5
	v_mul_u32_u24_sdwa v9, v52, s0 dst_sel:DWORD dst_unused:UNUSED_PAD src0_sel:WORD_0 src1_sel:DWORD
	v_mul_u32_u24_sdwa v15, v8, s0 dst_sel:DWORD dst_unused:UNUSED_PAD src0_sel:WORD_0 src1_sel:DWORD
	v_sub_u16_e32 v33, v4, v17
	v_mul_lo_u16_e32 v5, 11, v7
	v_lshrrev_b32_e32 v20, 19, v9
	v_lshrrev_b32_e32 v26, 19, v15
	v_lshlrev_b32_e32 v17, 3, v33
	s_waitcnt lgkmcnt(0)
	s_barrier
	v_sub_u16_e32 v10, v2, v5
	v_mov_b32_e32 v5, 3
	v_mul_lo_u16_e32 v9, 11, v20
	v_mul_lo_u16_e32 v15, 11, v26
	global_load_dwordx2 v[18:19], v17, s[4:5]
	v_lshlrev_b32_sdwa v5, v5, v10 dst_sel:DWORD dst_unused:UNUSED_PAD src0_sel:DWORD src1_sel:BYTE_0
	v_sub_u16_e32 v21, v52, v9
	v_sub_u16_e32 v27, v8, v15
	v_lshlrev_b32_e32 v9, 3, v21
	v_lshlrev_b32_e32 v15, 3, v27
	;; [unrolled: 1-line block ×3, first 2 shown]
	global_load_dwordx2 v[46:47], v5, s[4:5]
	global_load_dwordx2 v[44:45], v9, s[4:5]
	;; [unrolled: 1-line block ×4, first 2 shown]
	ds_read2_b32 v[38:39], v56 offset1:154
	ds_read2_b32 v[36:37], v12 offset0:40 offset1:194
	ds_read2_b32 v[50:51], v16 offset0:28 offset1:182
	ds_read_b32 v9, v57
	ds_read_b32 v5, v58
	ds_read2_b32 v[48:49], v59 offset0:80 offset1:234
	v_mov_b32_e32 v12, 2
	s_mov_b32 s1, 0x5040100
	s_movk_i32 s0, 0x58
	v_mul_u32_u24_e32 v16, 0x58, v20
	v_perm_b32 v20, v30, v26, s1
	v_mul_u32_u24_e32 v7, 0x58, v7
	v_lshlrev_b32_sdwa v10, v12, v10 dst_sel:DWORD dst_unused:UNUSED_PAD src0_sel:DWORD src1_sel:BYTE_0
	v_pk_mul_lo_u16 v20, v20, s0 op_sel_hi:[1,0]
	v_lshlrev_b32_e32 v21, 2, v21
	v_add3_u32 v55, 0, v7, v10
	v_add_f32_e32 v15, v24, v24
	v_mov_b32_e32 v17, v24
	v_and_b32_e32 v30, 0xfff8, v20
	v_lshrrev_b32_e32 v20, 16, v20
	v_lshlrev_b32_e32 v31, 2, v31
	v_add3_u32 v24, 0, v16, v21
	v_add3_u32 v54, 0, v20, v31
	v_mul_u32_u24_e32 v26, 0x58, v32
	v_lshlrev_b32_e32 v59, 2, v33
	v_lshlrev_b32_e32 v27, 2, v27
	v_add_u32_e32 v60, 0xd80, v56
	v_add3_u32 v53, 0, v30, v27
	s_waitcnt lgkmcnt(0)
	s_barrier
	s_movk_i32 s0, 0x42
	v_cmp_gt_u32_e64 s[0:1], s0, v2
	s_waitcnt vmcnt(4)
	v_mul_f32_e32 v7, v49, v19
	v_fma_f32 v21, v29, v18, -v7
	s_waitcnt vmcnt(3)
	v_mul_f32_e32 v7, v37, v47
	s_waitcnt vmcnt(2)
	v_mul_f32_e32 v10, v50, v45
	;; [unrolled: 2-line block ×4, first 2 shown]
	v_mul_f32_e32 v20, v48, v41
	v_fma_f32 v7, v25, v46, -v7
	v_fma_f32 v10, v22, v44, -v10
	;; [unrolled: 1-line block ×3, first 2 shown]
	v_pk_add_f32 v[32:33], v[16:17], v[20:21] neg_lo:[0,1] neg_hi:[0,1]
	v_sub_f32_e32 v7, v34, v7
	v_sub_f32_e32 v10, v35, v10
	;; [unrolled: 1-line block ×3, first 2 shown]
	v_pk_add_f32 v[16:17], v[14:15], v[32:33] neg_lo:[0,1] neg_hi:[0,1]
	v_fma_f32 v15, v34, 2.0, -v7
	v_fma_f32 v20, v35, 2.0, -v10
	;; [unrolled: 1-line block ×3, first 2 shown]
	v_add3_u32 v32, 0, v26, v59
	v_add_u32_e32 v59, 0x680, v56
	v_fma_f32 v14, v14, 2.0, -v16
	ds_write2_b32 v55, v15, v7 offset1:11
	ds_write2_b32 v24, v20, v10 offset1:11
	;; [unrolled: 1-line block ×5, first 2 shown]
	s_waitcnt lgkmcnt(0)
	s_barrier
	ds_read2_b32 v[20:21], v56 offset1:220
	ds_read2_b32 v[30:31], v59 offset0:24 offset1:244
	ds_read2_b32 v[26:27], v60 offset0:16 offset1:236
	ds_read_b32 v3, v56 offset:5280
                                        ; implicit-def: $vgpr34
                                        ; implicit-def: $vgpr7
	s_and_saveexec_b64 s[2:3], s[0:1]
	s_cbranch_execz .LBB0_17
; %bb.16:
	v_add_u32_e32 v7, 0x200, v56
	ds_read2_b32 v[16:17], v7 offset0:26 offset1:246
	v_add_u32_e32 v7, 0x900, v56
	ds_read2_b32 v[10:11], v7 offset0:18 offset1:238
	;; [unrolled: 2-line block ×3, first 2 shown]
	ds_read_b32 v7, v56 offset:5896
	s_waitcnt lgkmcnt(2)
	v_mov_b32_e32 v33, v10
.LBB0_17:
	s_or_b64 exec, exec, s[2:3]
	v_mul_f32_e32 v10, v25, v47
	v_mul_f32_e32 v12, v22, v45
	v_fmac_f32_e32 v10, v37, v46
	v_fmac_f32_e32 v12, v50, v44
	v_mul_f32_e32 v14, v23, v43
	v_mul_f32_e32 v15, v28, v41
	;; [unrolled: 1-line block ×3, first 2 shown]
	v_fmac_f32_e32 v14, v51, v42
	v_fmac_f32_e32 v15, v48, v40
	;; [unrolled: 1-line block ×3, first 2 shown]
	v_sub_f32_e32 v10, v38, v10
	v_sub_f32_e32 v22, v39, v12
	v_fma_f32 v18, v38, 2.0, -v10
	v_fma_f32 v23, v39, 2.0, -v22
	v_sub_f32_e32 v25, v9, v14
	v_sub_f32_e32 v14, v5, v15
	;; [unrolled: 1-line block ×3, first 2 shown]
	v_fma_f32 v9, v9, 2.0, -v25
	v_fma_f32 v5, v5, 2.0, -v14
	;; [unrolled: 1-line block ×3, first 2 shown]
	s_waitcnt lgkmcnt(0)
	s_barrier
	ds_write2_b32 v55, v18, v10 offset1:11
	ds_write2_b32 v24, v23, v22 offset1:11
	;; [unrolled: 1-line block ×5, first 2 shown]
	s_waitcnt lgkmcnt(0)
	s_barrier
	ds_read2_b32 v[18:19], v56 offset1:220
	ds_read2_b32 v[24:25], v59 offset0:24 offset1:244
	ds_read2_b32 v[22:23], v60 offset0:16 offset1:236
	ds_read_b32 v36, v56 offset:5280
                                        ; implicit-def: $vgpr28
                                        ; implicit-def: $vgpr32
	s_and_saveexec_b64 s[2:3], s[0:1]
	s_cbranch_execz .LBB0_19
; %bb.18:
	v_add_u32_e32 v5, 0x200, v56
	ds_read2_b32 v[14:15], v5 offset0:26 offset1:246
	v_add_u32_e32 v5, 0x900, v56
	ds_read2_b32 v[12:13], v5 offset0:18 offset1:238
	;; [unrolled: 2-line block ×3, first 2 shown]
	ds_read_b32 v32, v56 offset:5896
.LBB0_19:
	s_or_b64 exec, exec, s[2:3]
	s_mov_b32 s2, 0xba2f
	v_mul_u32_u24_sdwa v5, v52, s2 dst_sel:DWORD dst_unused:UNUSED_PAD src0_sel:WORD_0 src1_sel:DWORD
	v_lshrrev_b32_e32 v5, 20, v5
	v_mul_lo_u16_e32 v5, 22, v5
	v_sub_u16_e32 v50, v52, v5
	v_mul_u32_u24_e32 v5, 6, v50
	v_lshlrev_b32_e32 v5, 3, v5
	global_load_dwordx4 v[38:41], v5, s[4:5] offset:120
	global_load_dwordx4 v[42:45], v5, s[4:5] offset:104
	v_lshrrev_b16_e32 v9, 1, v2
	v_and_b32_e32 v9, 0x7f, v9
	v_mul_lo_u16_e32 v9, 0xbb, v9
	v_lshrrev_b16_e32 v51, 11, v9
	v_mul_lo_u16_e32 v9, 22, v51
	v_mov_b32_e32 v10, 6
	v_sub_u16_e32 v53, v2, v9
	v_mul_u32_u24_sdwa v9, v53, v10 dst_sel:DWORD dst_unused:UNUSED_PAD src0_sel:BYTE_0 src1_sel:DWORD
	v_lshlrev_b32_e32 v37, 3, v9
	global_load_dwordx4 v[46:49], v5, s[4:5] offset:88
	global_load_dwordx4 v[60:63], v37, s[4:5] offset:104
	s_mov_b32 s6, 0x3f5ff5aa
	s_mov_b32 s7, 0x3f3bfb3b
	;; [unrolled: 1-line block ×4, first 2 shown]
	s_waitcnt vmcnt(3)
	v_mul_f32_e32 v10, v7, v41
	s_waitcnt lgkmcnt(1)
	v_mul_f32_e32 v54, v29, v39
	v_mul_f32_e32 v5, v35, v39
	s_waitcnt lgkmcnt(0)
	v_mul_f32_e32 v9, v32, v41
	v_fmac_f32_e32 v10, v32, v40
	s_waitcnt vmcnt(2)
	v_mul_f32_e32 v32, v13, v43
	v_fma_f32 v9, v7, v40, -v9
	v_fma_f32 v7, v35, v38, -v54
	v_fmac_f32_e32 v5, v29, v38
	global_load_dwordx4 v[38:41], v37, s[4:5] offset:88
	v_mul_f32_e32 v29, v11, v43
	v_fma_f32 v11, v11, v42, -v32
	v_mul_f32_e32 v32, v28, v45
	v_mul_f32_e32 v35, v34, v45
	v_fma_f32 v32, v34, v44, -v32
	v_fmac_f32_e32 v35, v28, v44
	v_fmac_f32_e32 v29, v13, v42
	global_load_dwordx4 v[42:45], v37, s[4:5] offset:120
	s_waitcnt vmcnt(3)
	v_mul_f32_e32 v13, v12, v49
	v_fma_f32 v28, v33, v48, -v13
	v_mul_f32_e32 v33, v33, v49
	v_mul_f32_e32 v13, v15, v47
	;; [unrolled: 1-line block ×3, first 2 shown]
	v_fmac_f32_e32 v33, v12, v48
	v_fma_f32 v17, v17, v46, -v13
	v_fmac_f32_e32 v34, v15, v46
	s_barrier
	s_waitcnt vmcnt(1)
	v_mul_f32_e32 v37, v19, v39
	v_mul_f32_e32 v12, v21, v39
	;; [unrolled: 1-line block ×5, first 2 shown]
	v_fma_f32 v21, v21, v38, -v37
	v_fmac_f32_e32 v12, v19, v38
	v_fma_f32 v19, v30, v40, -v15
	v_fmac_f32_e32 v13, v24, v40
	v_mul_f32_e32 v24, v31, v61
	v_mul_f32_e32 v30, v26, v63
	s_waitcnt vmcnt(0)
	v_mul_f32_e32 v40, v23, v43
	v_fma_f32 v31, v31, v60, -v39
	v_mul_f32_e32 v37, v27, v43
	v_mul_f32_e32 v39, v36, v45
	;; [unrolled: 1-line block ×4, first 2 shown]
	v_fmac_f32_e32 v30, v22, v62
	v_fma_f32 v22, v27, v42, -v40
	v_fmac_f32_e32 v37, v23, v42
	v_fma_f32 v23, v3, v44, -v39
	;; [unrolled: 2-line block ×3, first 2 shown]
	v_fmac_f32_e32 v38, v36, v44
	v_add_f32_e32 v3, v21, v23
	v_add_f32_e32 v26, v19, v22
	v_sub_f32_e32 v15, v12, v38
	v_sub_f32_e32 v27, v13, v37
	v_add_f32_e32 v36, v31, v25
	v_sub_f32_e32 v39, v30, v24
	v_add_f32_e32 v40, v26, v3
	v_sub_f32_e32 v41, v26, v3
	v_sub_f32_e32 v3, v3, v36
	;; [unrolled: 1-line block ×3, first 2 shown]
	v_add_f32_e32 v42, v39, v27
	v_sub_f32_e32 v43, v39, v27
	v_sub_f32_e32 v27, v27, v15
	v_add_f32_e32 v36, v36, v40
	v_sub_f32_e32 v39, v15, v39
	v_add_f32_e32 v15, v42, v15
	v_mul_f32_e32 v3, 0x3f4a47b2, v3
	v_mul_f32_e32 v40, 0x3d64c772, v26
	;; [unrolled: 1-line block ×4, first 2 shown]
	v_add_f32_e32 v20, v20, v36
	v_fma_f32 v40, v41, s7, -v40
	v_fmamk_f32 v36, v36, 0xbf955555, v20
	v_fma_f32 v41, v41, s10, -v3
	v_fmac_f32_e32 v3, 0x3d64c772, v26
	v_fma_f32 v26, v27, s6, -v42
	v_fma_f32 v27, v39, s11, -v43
	v_fmac_f32_e32 v42, 0x3eae86e6, v39
	v_add_f32_e32 v3, v3, v36
	v_add_f32_e32 v39, v40, v36
	;; [unrolled: 1-line block ×3, first 2 shown]
	v_fmac_f32_e32 v27, 0x3ee1c552, v15
	v_fmac_f32_e32 v26, 0x3ee1c552, v15
	v_add_f32_e32 v40, v27, v36
	v_sub_f32_e32 v27, v36, v27
	v_mov_b32_e32 v36, 2
	v_fmac_f32_e32 v42, 0x3ee1c552, v15
	v_sub_f32_e32 v41, v39, v26
	v_add_f32_e32 v39, v26, v39
	v_mul_u32_u24_e32 v26, 0x268, v51
	v_lshlrev_b32_sdwa v36, v36, v53 dst_sel:DWORD dst_unused:UNUSED_PAD src0_sel:DWORD src1_sel:BYTE_0
	v_add_f32_e32 v15, v42, v3
	v_sub_f32_e32 v3, v3, v42
	v_add3_u32 v26, 0, v26, v36
	ds_write2_b32 v26, v20, v15 offset1:22
	ds_write2_b32 v26, v40, v41 offset0:44 offset1:66
	ds_write2_b32 v26, v39, v27 offset0:88 offset1:110
	ds_write_b32 v26, v3 offset:528
	v_lshrrev_b16_e32 v15, 1, v52
	v_lshlrev_b32_e32 v3, 2, v50
	s_and_saveexec_b64 s[2:3], s[0:1]
	s_cbranch_execz .LBB0_21
; %bb.20:
	v_add_f32_e32 v20, v17, v9
	v_add_f32_e32 v39, v28, v7
	;; [unrolled: 1-line block ×4, first 2 shown]
	v_sub_f32_e32 v43, v35, v29
	v_sub_f32_e32 v45, v33, v5
	;; [unrolled: 1-line block ×4, first 2 shown]
	v_add_f32_e32 v27, v27, v42
	v_sub_f32_e32 v42, v34, v10
	v_sub_f32_e32 v46, v43, v45
	v_mul_f32_e32 v36, 0x3f4a47b2, v36
	v_mul_f32_e32 v41, 0x3d64c772, v40
	v_add_f32_e32 v16, v16, v27
	v_sub_f32_e32 v44, v42, v43
	v_mul_f32_e32 v46, 0xbf08b237, v46
	v_add_f32_e32 v43, v43, v45
	v_sub_f32_e32 v20, v39, v20
	v_sub_f32_e32 v39, v45, v42
	v_fmamk_f32 v40, v40, 0x3d64c772, v36
	v_fmamk_f32 v27, v27, 0xbf955555, v16
	;; [unrolled: 1-line block ×3, first 2 shown]
	v_add_f32_e32 v43, v43, v42
	v_fma_f32 v36, v20, s10, -v36
	v_mul_f32_e32 v42, 0x3f5ff5aa, v39
	v_fma_f32 v39, v39, s6, -v46
	v_fma_f32 v20, v20, s7, -v41
	v_add_f32_e32 v40, v40, v27
	v_fmac_f32_e32 v47, 0x3ee1c552, v43
	v_fmac_f32_e32 v39, 0x3ee1c552, v43
	v_add_f32_e32 v20, v20, v27
	v_sub_f32_e32 v48, v40, v47
	v_add_f32_e32 v36, v36, v27
	v_add_f32_e32 v27, v39, v20
	v_sub_f32_e32 v20, v20, v39
	v_add_f32_e32 v39, v47, v40
	v_and_b32_e32 v40, 0x7f, v15
	v_mul_lo_u16_e32 v40, 0xbb, v40
	v_lshrrev_b16_e32 v40, 11, v40
	v_fma_f32 v42, v44, s11, -v42
	v_mul_u32_u24_e32 v40, 0x268, v40
	v_fmac_f32_e32 v42, 0x3ee1c552, v43
	v_add3_u32 v40, 0, v40, v3
	v_sub_f32_e32 v44, v36, v42
	v_add_f32_e32 v36, v42, v36
	ds_write2_b32 v40, v16, v39 offset1:22
	ds_write2_b32 v40, v36, v20 offset0:44 offset1:66
	ds_write2_b32 v40, v27, v44 offset0:88 offset1:110
	ds_write_b32 v40, v48 offset:528
.LBB0_21:
	s_or_b64 exec, exec, s[2:3]
	v_add_f32_e32 v12, v12, v38
	v_add_f32_e32 v13, v13, v37
	v_sub_f32_e32 v16, v21, v23
	v_sub_f32_e32 v19, v19, v22
	v_add_f32_e32 v20, v24, v30
	v_sub_f32_e32 v21, v25, v31
	v_add_f32_e32 v22, v13, v12
	v_sub_f32_e32 v23, v13, v12
	v_sub_f32_e32 v12, v12, v20
	;; [unrolled: 1-line block ×3, first 2 shown]
	v_add_f32_e32 v24, v21, v19
	v_sub_f32_e32 v25, v21, v19
	v_sub_f32_e32 v19, v19, v16
	v_add_f32_e32 v20, v20, v22
	v_sub_f32_e32 v21, v16, v21
	v_add_f32_e32 v16, v24, v16
	v_add_f32_e32 v36, v18, v20
	v_mul_f32_e32 v12, 0x3f4a47b2, v12
	v_mul_f32_e32 v18, 0x3d64c772, v13
	;; [unrolled: 1-line block ×4, first 2 shown]
	v_fmamk_f32 v20, v20, 0xbf955555, v36
	v_fma_f32 v18, v23, s7, -v18
	v_fma_f32 v23, v23, s10, -v12
	v_fmac_f32_e32 v12, 0x3d64c772, v13
	v_fma_f32 v13, v19, s6, -v22
	v_fmac_f32_e32 v22, 0x3eae86e6, v21
	v_fma_f32 v19, v21, s11, -v24
	v_add_f32_e32 v12, v12, v20
	v_add_f32_e32 v18, v18, v20
	v_add_f32_e32 v20, v23, v20
	v_fmac_f32_e32 v22, 0x3ee1c552, v16
	v_fmac_f32_e32 v13, 0x3ee1c552, v16
	v_fmac_f32_e32 v19, 0x3ee1c552, v16
	v_add_u32_e32 v27, 0x600, v56
	v_add_u32_e32 v30, 0xc00, v56
	;; [unrolled: 1-line block ×3, first 2 shown]
	v_sub_f32_e32 v16, v12, v22
	v_sub_f32_e32 v37, v20, v19
	v_add_f32_e32 v38, v13, v18
	v_sub_f32_e32 v39, v18, v13
	v_add_f32_e32 v40, v19, v20
	v_add_f32_e32 v41, v22, v12
	s_waitcnt lgkmcnt(0)
	s_barrier
	ds_read2_b32 v[12:13], v56 offset1:154
	ds_read2_b32 v[18:19], v27 offset0:78 offset1:232
	ds_read2_b32 v[20:21], v30 offset0:2 offset1:156
	ds_read2_b32 v[22:23], v31 offset0:54 offset1:208
	ds_read_b32 v25, v57
	ds_read_b32 v24, v56 offset:5544
	s_waitcnt lgkmcnt(0)
	s_barrier
	ds_write2_b32 v26, v36, v16 offset1:22
	ds_write2_b32 v26, v37, v38 offset0:44 offset1:66
	ds_write2_b32 v26, v39, v40 offset0:88 offset1:110
	ds_write_b32 v26, v41 offset:528
	s_and_saveexec_b64 s[2:3], s[0:1]
	s_cbranch_execz .LBB0_23
; %bb.22:
	v_add_f32_e32 v10, v34, v10
	v_add_f32_e32 v5, v33, v5
	;; [unrolled: 1-line block ×3, first 2 shown]
	v_sub_f32_e32 v9, v17, v9
	v_sub_f32_e32 v7, v28, v7
	;; [unrolled: 1-line block ×3, first 2 shown]
	v_add_f32_e32 v17, v5, v10
	v_sub_f32_e32 v26, v5, v10
	v_sub_f32_e32 v5, v16, v5
	;; [unrolled: 1-line block ×3, first 2 shown]
	v_add_f32_e32 v28, v11, v7
	v_sub_f32_e32 v29, v11, v7
	v_add_f32_e32 v16, v16, v17
	v_mul_f32_e32 v17, 0x3d64c772, v5
	s_mov_b32 s1, 0x3f3bfb3b
	v_sub_f32_e32 v11, v9, v11
	v_sub_f32_e32 v7, v7, v9
	v_add_f32_e32 v9, v28, v9
	v_add_f32_e32 v14, v14, v16
	v_mul_f32_e32 v10, 0x3f4a47b2, v10
	v_mul_f32_e32 v28, 0xbf08b237, v29
	s_mov_b32 s0, 0x3f5ff5aa
	v_fma_f32 v17, v26, s1, -v17
	s_mov_b32 s1, 0xbf3bfb3b
	v_mul_f32_e32 v29, 0x3f5ff5aa, v7
	v_fmamk_f32 v16, v16, 0xbf955555, v14
	v_fma_f32 v26, v26, s1, -v10
	v_fmac_f32_e32 v10, 0x3d64c772, v5
	v_fmamk_f32 v5, v11, 0x3eae86e6, v28
	v_fma_f32 v7, v7, s0, -v28
	s_mov_b32 s0, 0xbeae86e6
	v_fma_f32 v11, v11, s0, -v29
	v_add_f32_e32 v10, v10, v16
	v_fmac_f32_e32 v5, 0x3ee1c552, v9
	v_fmac_f32_e32 v7, 0x3ee1c552, v9
	;; [unrolled: 1-line block ×3, first 2 shown]
	v_sub_f32_e32 v9, v10, v5
	v_add_f32_e32 v5, v5, v10
	v_and_b32_e32 v10, 0x7f, v15
	v_mul_lo_u16_e32 v10, 0xbb, v10
	v_lshrrev_b16_e32 v10, 11, v10
	v_mul_u32_u24_e32 v10, 0x268, v10
	v_add_f32_e32 v17, v17, v16
	v_add_f32_e32 v16, v26, v16
	v_add3_u32 v3, 0, v10, v3
	v_sub_f32_e32 v26, v16, v11
	v_add_f32_e32 v28, v7, v17
	v_sub_f32_e32 v7, v17, v7
	v_add_f32_e32 v11, v11, v16
	ds_write2_b32 v3, v14, v9 offset1:22
	ds_write2_b32 v3, v26, v28 offset0:44 offset1:66
	ds_write2_b32 v3, v7, v11 offset0:88 offset1:110
	ds_write_b32 v3, v5 offset:528
.LBB0_23:
	s_or_b64 exec, exec, s[2:3]
	v_lshlrev_b32_e32 v10, 2, v2
	v_mov_b32_e32 v11, 0
	v_lshl_add_u64 v[14:15], v[10:11], 3, s[4:5]
	s_waitcnt lgkmcnt(0)
	s_barrier
	global_load_dwordx4 v[32:35], v[14:15], off offset:1144
	global_load_dwordx4 v[36:39], v[14:15], off offset:1160
	ds_read2_b32 v[16:17], v56 offset1:154
	ds_read_b32 v3, v57
	ds_read2_b32 v[14:15], v27 offset0:78 offset1:232
	ds_read2_b32 v[26:27], v30 offset0:2 offset1:156
	;; [unrolled: 1-line block ×3, first 2 shown]
	ds_read_b32 v5, v56 offset:5544
	s_waitcnt lgkmcnt(0)
	s_barrier
	s_waitcnt vmcnt(1)
	v_mul_f32_e32 v7, v3, v33
	v_mul_f32_e32 v9, v25, v33
	v_mul_f32_e32 v10, v15, v35
	s_waitcnt vmcnt(0)
	v_mul_f32_e32 v31, v27, v37
	v_mul_f32_e32 v30, v19, v35
	;; [unrolled: 1-line block ×6, first 2 shown]
	v_fma_f32 v7, v25, v32, -v7
	v_fmac_f32_e32 v9, v3, v32
	v_fma_f32 v3, v19, v34, -v10
	v_fma_f32 v10, v21, v36, -v31
	v_mul_f32_e32 v40, v21, v37
	v_mul_f32_e32 v43, v14, v33
	v_mul_f32_e32 v33, v18, v33
	v_mul_f32_e32 v44, v26, v35
	v_mul_f32_e32 v35, v20, v35
	v_mul_f32_e32 v45, v28, v37
	v_fmac_f32_e32 v30, v15, v34
	v_fma_f32 v15, v23, v38, -v41
	v_fmac_f32_e32 v42, v29, v38
	v_fmac_f32_e32 v39, v5, v38
	v_add_f32_e32 v5, v12, v7
	v_add_f32_e32 v21, v3, v10
	v_mul_f32_e32 v37, v22, v37
	v_fmac_f32_e32 v40, v27, v36
	v_fma_f32 v18, v18, v32, -v43
	v_fmac_f32_e32 v33, v14, v32
	v_fma_f32 v14, v20, v34, -v44
	;; [unrolled: 2-line block ×3, first 2 shown]
	v_fma_f32 v20, v24, v38, -v46
	v_sub_f32_e32 v22, v9, v42
	v_sub_f32_e32 v24, v7, v3
	v_add_f32_e32 v26, v7, v15
	v_sub_f32_e32 v27, v3, v7
	v_sub_f32_e32 v32, v3, v10
	v_add_f32_e32 v3, v5, v3
	v_fma_f32 v21, -0.5, v21, v12
	v_fmac_f32_e32 v37, v28, v36
	v_sub_f32_e32 v23, v30, v40
	v_sub_f32_e32 v25, v15, v10
	;; [unrolled: 1-line block ×3, first 2 shown]
	v_add_f32_e32 v31, v30, v40
	v_fma_f32 v12, -0.5, v26, v12
	v_add_f32_e32 v3, v3, v10
	v_fmamk_f32 v10, v22, 0x3f737871, v21
	v_fmac_f32_e32 v21, 0xbf737871, v22
	v_add_f32_e32 v29, v16, v9
	v_sub_f32_e32 v7, v7, v15
	v_add_f32_e32 v5, v24, v25
	v_add_f32_e32 v24, v27, v28
	v_fma_f32 v26, -0.5, v31, v16
	v_fmamk_f32 v28, v23, 0xbf737871, v12
	v_fmac_f32_e32 v12, 0x3f737871, v23
	v_fmac_f32_e32 v10, 0x3f167918, v23
	;; [unrolled: 1-line block ×3, first 2 shown]
	v_sub_f32_e32 v34, v9, v30
	v_sub_f32_e32 v36, v42, v40
	v_add_f32_e32 v25, v29, v30
	v_fmamk_f32 v29, v7, 0xbf737871, v26
	v_fmac_f32_e32 v26, 0x3f737871, v7
	v_fmac_f32_e32 v28, 0x3f167918, v22
	;; [unrolled: 1-line block ×5, first 2 shown]
	v_add_f32_e32 v5, v9, v42
	v_add_f32_e32 v27, v34, v36
	v_fmac_f32_e32 v29, 0xbf167918, v32
	v_fmac_f32_e32 v28, 0x3e9e377a, v24
	;; [unrolled: 1-line block ×4, first 2 shown]
	v_fma_f32 v24, -0.5, v5, v16
	v_fmac_f32_e32 v29, 0x3e9e377a, v27
	v_fmac_f32_e32 v26, 0x3e9e377a, v27
	v_fmamk_f32 v27, v32, 0x3f737871, v24
	v_sub_f32_e32 v5, v30, v9
	v_sub_f32_e32 v9, v40, v42
	v_fmac_f32_e32 v24, 0xbf737871, v32
	v_fmac_f32_e32 v27, 0xbf167918, v7
	v_add_f32_e32 v5, v5, v9
	v_fmac_f32_e32 v24, 0x3f167918, v7
	v_fmac_f32_e32 v27, 0x3e9e377a, v5
	;; [unrolled: 1-line block ×3, first 2 shown]
	v_add_f32_e32 v5, v13, v18
	v_add_f32_e32 v5, v5, v14
	;; [unrolled: 1-line block ×6, first 2 shown]
	v_fma_f32 v15, -0.5, v5, v13
	v_sub_f32_e32 v5, v33, v39
	v_fmamk_f32 v16, v5, 0x3f737871, v15
	v_sub_f32_e32 v9, v35, v37
	v_sub_f32_e32 v22, v18, v14
	;; [unrolled: 1-line block ×3, first 2 shown]
	v_fmac_f32_e32 v15, 0xbf737871, v5
	v_fmac_f32_e32 v16, 0x3f167918, v9
	v_add_f32_e32 v22, v22, v23
	v_fmac_f32_e32 v15, 0xbf167918, v9
	v_fmac_f32_e32 v16, 0x3e9e377a, v22
	;; [unrolled: 1-line block ×3, first 2 shown]
	v_add_f32_e32 v22, v18, v20
	v_fmac_f32_e32 v13, -0.5, v22
	v_fmamk_f32 v22, v9, 0xbf737871, v13
	v_fmac_f32_e32 v13, 0x3f737871, v9
	v_fmac_f32_e32 v22, 0x3f167918, v5
	;; [unrolled: 1-line block ×3, first 2 shown]
	v_add_f32_e32 v5, v17, v33
	v_add_f32_e32 v5, v5, v35
	v_sub_f32_e32 v23, v14, v18
	v_sub_f32_e32 v30, v19, v20
	v_add_f32_e32 v5, v5, v37
	v_add_f32_e32 v23, v23, v30
	;; [unrolled: 1-line block ×4, first 2 shown]
	v_fma_f32 v31, -0.5, v5, v17
	v_sub_f32_e32 v5, v18, v20
	v_fmamk_f32 v32, v5, 0xbf737871, v31
	v_sub_f32_e32 v9, v14, v19
	v_sub_f32_e32 v14, v33, v35
	;; [unrolled: 1-line block ×3, first 2 shown]
	v_fmac_f32_e32 v31, 0x3f737871, v5
	v_fmac_f32_e32 v32, 0xbf167918, v9
	v_add_f32_e32 v14, v14, v18
	v_fmac_f32_e32 v31, 0x3f167918, v9
	v_fmac_f32_e32 v32, 0x3e9e377a, v14
	;; [unrolled: 1-line block ×3, first 2 shown]
	v_add_f32_e32 v14, v33, v39
	v_fmac_f32_e32 v17, -0.5, v14
	v_fmamk_f32 v19, v9, 0x3f737871, v17
	v_fmac_f32_e32 v17, 0xbf737871, v9
	v_fmac_f32_e32 v19, 0xbf167918, v5
	v_sub_f32_e32 v14, v35, v33
	v_sub_f32_e32 v18, v37, v39
	v_fmac_f32_e32 v17, 0x3f167918, v5
	v_add_u32_e32 v5, 0x900, v56
	v_fmac_f32_e32 v22, 0x3e9e377a, v23
	v_fmac_f32_e32 v13, 0x3e9e377a, v23
	v_add_f32_e32 v14, v14, v18
	ds_write2_b32 v56, v3, v10 offset1:154
	v_add_u32_e32 v3, 0x400, v56
	ds_write2_b32 v5, v21, v7 offset0:40 offset1:194
	v_add_u32_e32 v9, 0xe00, v56
	v_add_u32_e32 v7, 0x1200, v56
	v_fmac_f32_e32 v19, 0x3e9e377a, v14
	v_fmac_f32_e32 v17, 0x3e9e377a, v14
	ds_write2_b32 v3, v28, v12 offset0:52 offset1:206
	ds_write2_b32 v9, v16, v22 offset0:28 offset1:182
	;; [unrolled: 1-line block ×3, first 2 shown]
	s_waitcnt lgkmcnt(0)
	s_barrier
	ds_read2_b32 v[22:23], v56 offset1:154
	ds_read2_b32 v[12:13], v5 offset0:40 offset1:194
	ds_read2_b32 v[20:21], v9 offset0:28 offset1:182
	ds_read_b32 v18, v57
	ds_read_b32 v16, v58
	ds_read2_b32 v[14:15], v7 offset0:80 offset1:234
	v_add_f32_e32 v25, v25, v40
	v_add_f32_e32 v25, v25, v42
	s_waitcnt lgkmcnt(0)
	s_barrier
	ds_write2_b32 v56, v25, v29 offset1:154
	ds_write2_b32 v3, v27, v24 offset0:52 offset1:206
	ds_write2_b32 v5, v26, v30 offset0:40 offset1:194
	;; [unrolled: 1-line block ×4, first 2 shown]
	s_waitcnt lgkmcnt(0)
	s_barrier
	s_and_saveexec_b64 s[0:1], vcc
	s_cbranch_execz .LBB0_25
; %bb.24:
	v_mov_b32_e32 v3, v11
	v_lshl_add_u64 v[24:25], v[2:3], 3, s[4:5]
	s_movk_i32 s6, 0x1000
	v_add_co_u32_e32 v24, vcc, s6, v24
	v_mov_b32_e32 v36, v13
	s_nop 0
	v_addc_co_u32_e32 v25, vcc, 0, v25, vcc
	global_load_dwordx2 v[26:27], v[24:25], off offset:1976
	global_load_dwordx2 v[28:29], v[24:25], off offset:3208
	ds_read2_b32 v[24:25], v5 offset0:40 offset1:194
	ds_read2_b32 v[30:31], v7 offset0:80 offset1:234
	ds_read_b32 v17, v58
	ds_read_b32 v19, v57
	ds_read2_b32 v[32:33], v9 offset0:28 offset1:182
	v_mov_b32_e32 v9, v11
	v_lshl_add_u64 v[8:9], v[8:9], 3, s[4:5]
	v_add_co_u32_e32 v8, vcc, s6, v8
	v_mov_b32_e32 v7, v11
	s_nop 0
	v_addc_co_u32_e32 v9, vcc, 0, v9, vcc
	global_load_dwordx2 v[8:9], v[8:9], off offset:1976
	v_lshl_add_u64 v[6:7], v[6:7], 3, s[4:5]
	v_mov_b32_e32 v5, v11
	v_add_co_u32_e32 v6, vcc, s6, v6
	v_lshl_add_u64 v[44:45], v[4:5], 3, s[4:5]
	s_nop 0
	v_addc_co_u32_e32 v7, vcc, 0, v7, vcc
	v_add_co_u32_e32 v44, vcc, s6, v44
	ds_read2_b32 v[10:11], v56 offset1:154
	s_nop 0
	v_addc_co_u32_e32 v45, vcc, 0, v45, vcc
	global_load_dwordx2 v[44:45], v[44:45], off offset:1976
	v_mov_b32_e32 v38, v13
	global_load_dwordx2 v[6:7], v[6:7], off offset:1976
	v_mad_u64_u32 v[42:43], s[2:3], s8, v52, 0
	v_add_u32_e32 v13, 0x39c, v2
	v_mad_u64_u32 v[34:35], s[0:1], s8, v2, 0
	v_add_u32_e32 v3, 0x302, v2
	v_mov_b32_e32 v48, v43
	v_mad_u64_u32 v[50:51], s[2:3], s8, v13, 0
	v_mov_b32_e32 v40, v22
	v_mov_b32_e32 v22, v35
	v_mad_u64_u32 v[46:47], s[2:3], s8, v3, 0
	v_mad_u64_u32 v[48:49], s[2:3], s9, v52, v[48:49]
	v_mov_b32_e32 v52, v51
	v_mad_u64_u32 v[54:55], s[2:3], s9, v2, v[22:23]
	v_mov_b32_e32 v22, v47
	v_mov_b32_e32 v43, v48
	v_mad_u64_u32 v[48:49], s[2:3], s9, v13, v[52:53]
	v_mov_b32_e32 v35, v54
	v_mad_u64_u32 v[54:55], s[2:3], s9, v3, v[22:23]
	v_mov_b32_e32 v51, v48
	s_waitcnt lgkmcnt(5)
	v_mov_b32_e32 v22, v25
	s_waitcnt lgkmcnt(0)
	v_mov_b32_e32 v41, v10
	v_lshl_add_u64 v[48:49], v[50:51], 3, v[0:1]
	v_mov_b32_e32 v10, v23
	v_add_u32_e32 v3, 0x134, v2
	s_mov_b32 s1, 0x551c979b
	v_mul_hi_u32 v5, v3, s1
	s_movk_i32 s0, 0x302
	v_lshrrev_b32_e32 v5, 8, v5
	v_lshl_add_u64 v[34:35], v[34:35], 3, v[0:1]
	v_mov_b32_e32 v47, v54
	v_mad_u32_u24 v3, v5, s0, v3
	v_lshl_add_u64 v[42:43], v[42:43], 3, v[0:1]
	v_lshl_add_u64 v[46:47], v[46:47], 3, v[0:1]
	v_add_u32_e32 v2, 0x1ce, v2
	v_mov_b32_e32 v13, v24
	s_waitcnt vmcnt(4)
	v_pk_mul_f32 v[22:23], v[22:23], v[26:27] op_sel:[0,1] op_sel_hi:[0,0]
	s_waitcnt vmcnt(3)
	v_pk_mul_f32 v[50:51], v[32:33], v[28:29] op_sel:[0,1] op_sel_hi:[0,0]
	v_pk_fma_f32 v[36:37], v[36:37], v[26:27], v[22:23] neg_lo:[0,0,1] neg_hi:[0,0,1]
	v_pk_fma_f32 v[22:23], v[38:39], v[26:27], v[22:23] op_sel_hi:[0,1,1]
	v_pk_fma_f32 v[26:27], v[20:21], v[28:29], v[50:51] neg_lo:[0,0,1] neg_hi:[0,0,1]
	v_pk_fma_f32 v[28:29], v[20:21], v[28:29], v[50:51] op_sel_hi:[0,1,1]
	v_mov_b32_e32 v37, v23
	v_mov_b32_e32 v27, v29
	v_pk_add_f32 v[22:23], v[40:41], v[36:37] neg_lo:[0,1] neg_hi:[0,1]
	v_pk_add_f32 v[26:27], v[10:11], v[26:27] neg_lo:[0,1] neg_hi:[0,1]
	v_pk_fma_f32 v[28:29], v[40:41], 2.0, v[22:23] op_sel_hi:[1,0,1] neg_lo:[0,0,1] neg_hi:[0,0,1]
	v_pk_fma_f32 v[10:11], v[10:11], 2.0, v[26:27] op_sel_hi:[1,0,1] neg_lo:[0,0,1] neg_hi:[0,0,1]
	global_store_dwordx2 v[34:35], v[28:29], off
	global_store_dwordx2 v[46:47], v[22:23], off
	;; [unrolled: 1-line block ×4, first 2 shown]
	v_mad_u64_u32 v[10:11], s[2:3], s8, v3, 0
	v_mov_b32_e32 v20, v11
	v_mad_u64_u32 v[22:23], s[2:3], s9, v3, v[20:21]
	v_add_u32_e32 v3, 0x302, v3
	v_mov_b32_e32 v11, v22
	v_mad_u64_u32 v[22:23], s[2:3], s8, v3, 0
	v_mov_b32_e32 v20, v23
	v_mad_u64_u32 v[26:27], s[2:3], s9, v3, v[20:21]
	v_mov_b32_e32 v28, v33
	v_mov_b32_e32 v23, v26
	;; [unrolled: 1-line block ×4, first 2 shown]
	s_waitcnt vmcnt(6)
	v_pk_mul_f32 v[28:29], v[28:29], v[8:9] op_sel:[0,1] op_sel_hi:[0,0]
	v_pk_fma_f32 v[20:21], v[20:21], v[8:9], v[28:29] neg_lo:[0,0,1] neg_hi:[0,0,1]
	v_pk_fma_f32 v[8:9], v[26:27], v[8:9], v[28:29] op_sel_hi:[0,1,1]
	v_mul_hi_u32 v3, v2, s1
	v_mov_b32_e32 v21, v9
	v_lshrrev_b32_e32 v3, 8, v3
	v_pk_add_f32 v[8:9], v[18:19], v[20:21] neg_lo:[0,1] neg_hi:[0,1]
	v_mad_u32_u24 v5, v3, s0, v2
	v_lshl_add_u64 v[10:11], v[10:11], 3, v[0:1]
	v_pk_fma_f32 v[18:19], v[18:19], 2.0, v[8:9] op_sel_hi:[1,0,1] neg_lo:[0,0,1] neg_hi:[0,0,1]
	v_mad_u64_u32 v[2:3], s[2:3], s8, v5, 0
	v_lshl_add_u64 v[22:23], v[22:23], 3, v[0:1]
	global_store_dwordx2 v[10:11], v[18:19], off
	global_store_dwordx2 v[22:23], v[8:9], off
	v_mov_b32_e32 v8, v3
	v_mad_u64_u32 v[8:9], s[2:3], s9, v5, v[8:9]
	v_add_u32_e32 v5, 0x302, v5
	v_mov_b32_e32 v3, v8
	v_mad_u64_u32 v[8:9], s[2:3], s8, v5, 0
	v_mov_b32_e32 v10, v9
	v_mad_u64_u32 v[10:11], s[2:3], s9, v5, v[10:11]
	v_mov_b32_e32 v9, v10
	s_waitcnt vmcnt(6)
	v_pk_mul_f32 v[10:11], v[30:31], v[6:7] op_sel:[0,1] op_sel_hi:[0,0]
	v_pk_fma_f32 v[18:19], v[14:15], v[6:7], v[10:11] neg_lo:[0,0,1] neg_hi:[0,0,1]
	v_pk_fma_f32 v[6:7], v[14:15], v[6:7], v[10:11] op_sel_hi:[0,1,1]
	v_mov_b32_e32 v19, v7
	v_pk_add_f32 v[6:7], v[16:17], v[18:19] neg_lo:[0,1] neg_hi:[0,1]
	v_lshl_add_u64 v[2:3], v[2:3], 3, v[0:1]
	v_pk_fma_f32 v[10:11], v[16:17], 2.0, v[6:7] op_sel_hi:[1,0,1] neg_lo:[0,0,1] neg_hi:[0,0,1]
	v_lshl_add_u64 v[8:9], v[8:9], 3, v[0:1]
	global_store_dwordx2 v[2:3], v[10:11], off
	global_store_dwordx2 v[8:9], v[6:7], off
	v_mul_hi_u32 v2, v4, s1
	v_lshrrev_b32_e32 v2, 8, v2
	v_mad_u32_u24 v6, v2, s0, v4
	v_mad_u64_u32 v[2:3], s[0:1], s8, v6, 0
	v_mov_b32_e32 v4, v3
	v_mad_u64_u32 v[4:5], s[0:1], s9, v6, v[4:5]
	v_add_u32_e32 v7, 0x302, v6
	v_mov_b32_e32 v3, v4
	v_mad_u64_u32 v[4:5], s[0:1], s8, v7, 0
	v_mov_b32_e32 v6, v5
	v_mad_u64_u32 v[6:7], s[0:1], s9, v7, v[6:7]
	v_mov_b32_e32 v5, v6
	v_mov_b32_e32 v8, v31
	v_lshl_add_u64 v[2:3], v[2:3], 3, v[0:1]
	v_lshl_add_u64 v[0:1], v[4:5], 3, v[0:1]
	v_mov_b32_e32 v4, v15
	v_mov_b32_e32 v6, v15
	v_pk_mul_f32 v[8:9], v[8:9], v[44:45] op_sel:[0,1] op_sel_hi:[0,0]
	v_pk_fma_f32 v[4:5], v[4:5], v[44:45], v[8:9] neg_lo:[0,0,1] neg_hi:[0,0,1]
	v_pk_fma_f32 v[6:7], v[6:7], v[44:45], v[8:9] op_sel_hi:[0,1,1]
	v_mov_b32_e32 v5, v7
	v_pk_add_f32 v[4:5], v[12:13], v[4:5] neg_lo:[0,1] neg_hi:[0,1]
	s_nop 0
	v_pk_fma_f32 v[6:7], v[12:13], 2.0, v[4:5] op_sel_hi:[1,0,1] neg_lo:[0,0,1] neg_hi:[0,0,1]
	global_store_dwordx2 v[2:3], v[6:7], off
	global_store_dwordx2 v[0:1], v[4:5], off
.LBB0_25:
	s_endpgm
	.section	.rodata,"a",@progbits
	.p2align	6, 0x0
	.amdhsa_kernel fft_rtc_fwd_len1540_factors_11_2_7_5_2_wgs_154_tpt_154_halfLds_sp_ip_CI_sbrr_dirReg
		.amdhsa_group_segment_fixed_size 0
		.amdhsa_private_segment_fixed_size 0
		.amdhsa_kernarg_size 88
		.amdhsa_user_sgpr_count 2
		.amdhsa_user_sgpr_dispatch_ptr 0
		.amdhsa_user_sgpr_queue_ptr 0
		.amdhsa_user_sgpr_kernarg_segment_ptr 1
		.amdhsa_user_sgpr_dispatch_id 0
		.amdhsa_user_sgpr_kernarg_preload_length 0
		.amdhsa_user_sgpr_kernarg_preload_offset 0
		.amdhsa_user_sgpr_private_segment_size 0
		.amdhsa_uses_dynamic_stack 0
		.amdhsa_enable_private_segment 0
		.amdhsa_system_sgpr_workgroup_id_x 1
		.amdhsa_system_sgpr_workgroup_id_y 0
		.amdhsa_system_sgpr_workgroup_id_z 0
		.amdhsa_system_sgpr_workgroup_info 0
		.amdhsa_system_vgpr_workitem_id 0
		.amdhsa_next_free_vgpr 68
		.amdhsa_next_free_sgpr 44
		.amdhsa_accum_offset 68
		.amdhsa_reserve_vcc 1
		.amdhsa_float_round_mode_32 0
		.amdhsa_float_round_mode_16_64 0
		.amdhsa_float_denorm_mode_32 3
		.amdhsa_float_denorm_mode_16_64 3
		.amdhsa_dx10_clamp 1
		.amdhsa_ieee_mode 1
		.amdhsa_fp16_overflow 0
		.amdhsa_tg_split 0
		.amdhsa_exception_fp_ieee_invalid_op 0
		.amdhsa_exception_fp_denorm_src 0
		.amdhsa_exception_fp_ieee_div_zero 0
		.amdhsa_exception_fp_ieee_overflow 0
		.amdhsa_exception_fp_ieee_underflow 0
		.amdhsa_exception_fp_ieee_inexact 0
		.amdhsa_exception_int_div_zero 0
	.end_amdhsa_kernel
	.text
.Lfunc_end0:
	.size	fft_rtc_fwd_len1540_factors_11_2_7_5_2_wgs_154_tpt_154_halfLds_sp_ip_CI_sbrr_dirReg, .Lfunc_end0-fft_rtc_fwd_len1540_factors_11_2_7_5_2_wgs_154_tpt_154_halfLds_sp_ip_CI_sbrr_dirReg
                                        ; -- End function
	.section	.AMDGPU.csdata,"",@progbits
; Kernel info:
; codeLenInByte = 8724
; NumSgprs: 50
; NumVgprs: 68
; NumAgprs: 0
; TotalNumVgprs: 68
; ScratchSize: 0
; MemoryBound: 0
; FloatMode: 240
; IeeeMode: 1
; LDSByteSize: 0 bytes/workgroup (compile time only)
; SGPRBlocks: 6
; VGPRBlocks: 8
; NumSGPRsForWavesPerEU: 50
; NumVGPRsForWavesPerEU: 68
; AccumOffset: 68
; Occupancy: 7
; WaveLimiterHint : 1
; COMPUTE_PGM_RSRC2:SCRATCH_EN: 0
; COMPUTE_PGM_RSRC2:USER_SGPR: 2
; COMPUTE_PGM_RSRC2:TRAP_HANDLER: 0
; COMPUTE_PGM_RSRC2:TGID_X_EN: 1
; COMPUTE_PGM_RSRC2:TGID_Y_EN: 0
; COMPUTE_PGM_RSRC2:TGID_Z_EN: 0
; COMPUTE_PGM_RSRC2:TIDIG_COMP_CNT: 0
; COMPUTE_PGM_RSRC3_GFX90A:ACCUM_OFFSET: 16
; COMPUTE_PGM_RSRC3_GFX90A:TG_SPLIT: 0
	.text
	.p2alignl 6, 3212836864
	.fill 256, 4, 3212836864
	.type	__hip_cuid_739b8d82a85c71f2,@object ; @__hip_cuid_739b8d82a85c71f2
	.section	.bss,"aw",@nobits
	.globl	__hip_cuid_739b8d82a85c71f2
__hip_cuid_739b8d82a85c71f2:
	.byte	0                               ; 0x0
	.size	__hip_cuid_739b8d82a85c71f2, 1

	.ident	"AMD clang version 19.0.0git (https://github.com/RadeonOpenCompute/llvm-project roc-6.4.0 25133 c7fe45cf4b819c5991fe208aaa96edf142730f1d)"
	.section	".note.GNU-stack","",@progbits
	.addrsig
	.addrsig_sym __hip_cuid_739b8d82a85c71f2
	.amdgpu_metadata
---
amdhsa.kernels:
  - .agpr_count:     0
    .args:
      - .actual_access:  read_only
        .address_space:  global
        .offset:         0
        .size:           8
        .value_kind:     global_buffer
      - .offset:         8
        .size:           8
        .value_kind:     by_value
      - .actual_access:  read_only
        .address_space:  global
        .offset:         16
        .size:           8
        .value_kind:     global_buffer
      - .actual_access:  read_only
        .address_space:  global
        .offset:         24
        .size:           8
        .value_kind:     global_buffer
      - .offset:         32
        .size:           8
        .value_kind:     by_value
      - .actual_access:  read_only
        .address_space:  global
        .offset:         40
        .size:           8
        .value_kind:     global_buffer
      - .actual_access:  read_only
        .address_space:  global
        .offset:         48
        .size:           8
        .value_kind:     global_buffer
      - .offset:         56
        .size:           4
        .value_kind:     by_value
      - .actual_access:  read_only
        .address_space:  global
        .offset:         64
        .size:           8
        .value_kind:     global_buffer
      - .actual_access:  read_only
        .address_space:  global
        .offset:         72
        .size:           8
        .value_kind:     global_buffer
      - .address_space:  global
        .offset:         80
        .size:           8
        .value_kind:     global_buffer
    .group_segment_fixed_size: 0
    .kernarg_segment_align: 8
    .kernarg_segment_size: 88
    .language:       OpenCL C
    .language_version:
      - 2
      - 0
    .max_flat_workgroup_size: 154
    .name:           fft_rtc_fwd_len1540_factors_11_2_7_5_2_wgs_154_tpt_154_halfLds_sp_ip_CI_sbrr_dirReg
    .private_segment_fixed_size: 0
    .sgpr_count:     50
    .sgpr_spill_count: 0
    .symbol:         fft_rtc_fwd_len1540_factors_11_2_7_5_2_wgs_154_tpt_154_halfLds_sp_ip_CI_sbrr_dirReg.kd
    .uniform_work_group_size: 1
    .uses_dynamic_stack: false
    .vgpr_count:     68
    .vgpr_spill_count: 0
    .wavefront_size: 64
amdhsa.target:   amdgcn-amd-amdhsa--gfx950
amdhsa.version:
  - 1
  - 2
...

	.end_amdgpu_metadata
